;; amdgpu-corpus repo=ROCm/rocFFT kind=compiled arch=gfx1100 opt=O3
	.text
	.amdgcn_target "amdgcn-amd-amdhsa--gfx1100"
	.amdhsa_code_object_version 6
	.protected	fft_rtc_fwd_len819_factors_9_7_13_wgs_117_tpt_117_dp_ip_CI_sbrr_dirReg ; -- Begin function fft_rtc_fwd_len819_factors_9_7_13_wgs_117_tpt_117_dp_ip_CI_sbrr_dirReg
	.globl	fft_rtc_fwd_len819_factors_9_7_13_wgs_117_tpt_117_dp_ip_CI_sbrr_dirReg
	.p2align	8
	.type	fft_rtc_fwd_len819_factors_9_7_13_wgs_117_tpt_117_dp_ip_CI_sbrr_dirReg,@function
fft_rtc_fwd_len819_factors_9_7_13_wgs_117_tpt_117_dp_ip_CI_sbrr_dirReg: ; @fft_rtc_fwd_len819_factors_9_7_13_wgs_117_tpt_117_dp_ip_CI_sbrr_dirReg
; %bb.0:
	s_clause 0x2
	s_load_b64 s[12:13], s[0:1], 0x18
	s_load_b128 s[4:7], s[0:1], 0x0
	s_load_b64 s[10:11], s[0:1], 0x50
	v_mul_u32_u24_e32 v1, 0x231, v0
	v_mov_b32_e32 v3, 0
	v_mov_b32_e32 v4, 0
	s_delay_alu instid0(VALU_DEP_3) | instskip(SKIP_1) | instid1(VALU_DEP_1)
	v_lshrrev_b32_e32 v2, 16, v1
	v_mov_b32_e32 v1, 0
	v_dual_mov_b32 v6, v1 :: v_dual_add_nc_u32 v5, s15, v2
	s_waitcnt lgkmcnt(0)
	s_load_b64 s[8:9], s[12:13], 0x0
	v_cmp_lt_u64_e64 s2, s[6:7], 2
	s_delay_alu instid0(VALU_DEP_1)
	s_and_b32 vcc_lo, exec_lo, s2
	s_cbranch_vccnz .LBB0_8
; %bb.1:
	s_load_b64 s[2:3], s[0:1], 0x10
	v_mov_b32_e32 v3, 0
	s_add_u32 s14, s12, 8
	v_mov_b32_e32 v4, 0
	s_addc_u32 s15, s13, 0
	s_mov_b64 s[18:19], 1
	s_waitcnt lgkmcnt(0)
	s_add_u32 s16, s2, 8
	s_addc_u32 s17, s3, 0
.LBB0_2:                                ; =>This Inner Loop Header: Depth=1
	s_load_b64 s[20:21], s[16:17], 0x0
                                        ; implicit-def: $vgpr7_vgpr8
	s_mov_b32 s2, exec_lo
	s_waitcnt lgkmcnt(0)
	v_or_b32_e32 v2, s21, v6
	s_delay_alu instid0(VALU_DEP_1)
	v_cmpx_ne_u64_e32 0, v[1:2]
	s_xor_b32 s3, exec_lo, s2
	s_cbranch_execz .LBB0_4
; %bb.3:                                ;   in Loop: Header=BB0_2 Depth=1
	v_cvt_f32_u32_e32 v2, s20
	v_cvt_f32_u32_e32 v7, s21
	s_sub_u32 s2, 0, s20
	s_subb_u32 s22, 0, s21
	s_delay_alu instid0(VALU_DEP_1) | instskip(NEXT) | instid1(VALU_DEP_1)
	v_fmac_f32_e32 v2, 0x4f800000, v7
	v_rcp_f32_e32 v2, v2
	s_waitcnt_depctr 0xfff
	v_mul_f32_e32 v2, 0x5f7ffffc, v2
	s_delay_alu instid0(VALU_DEP_1) | instskip(NEXT) | instid1(VALU_DEP_1)
	v_mul_f32_e32 v7, 0x2f800000, v2
	v_trunc_f32_e32 v7, v7
	s_delay_alu instid0(VALU_DEP_1) | instskip(SKIP_1) | instid1(VALU_DEP_2)
	v_fmac_f32_e32 v2, 0xcf800000, v7
	v_cvt_u32_f32_e32 v7, v7
	v_cvt_u32_f32_e32 v2, v2
	s_delay_alu instid0(VALU_DEP_2) | instskip(NEXT) | instid1(VALU_DEP_2)
	v_mul_lo_u32 v8, s2, v7
	v_mul_hi_u32 v9, s2, v2
	v_mul_lo_u32 v10, s22, v2
	s_delay_alu instid0(VALU_DEP_2) | instskip(SKIP_1) | instid1(VALU_DEP_2)
	v_add_nc_u32_e32 v8, v9, v8
	v_mul_lo_u32 v9, s2, v2
	v_add_nc_u32_e32 v8, v8, v10
	s_delay_alu instid0(VALU_DEP_2) | instskip(NEXT) | instid1(VALU_DEP_2)
	v_mul_hi_u32 v10, v2, v9
	v_mul_lo_u32 v11, v2, v8
	v_mul_hi_u32 v12, v2, v8
	v_mul_hi_u32 v13, v7, v9
	v_mul_lo_u32 v9, v7, v9
	v_mul_hi_u32 v14, v7, v8
	v_mul_lo_u32 v8, v7, v8
	v_add_co_u32 v10, vcc_lo, v10, v11
	v_add_co_ci_u32_e32 v11, vcc_lo, 0, v12, vcc_lo
	s_delay_alu instid0(VALU_DEP_2) | instskip(NEXT) | instid1(VALU_DEP_2)
	v_add_co_u32 v9, vcc_lo, v10, v9
	v_add_co_ci_u32_e32 v9, vcc_lo, v11, v13, vcc_lo
	v_add_co_ci_u32_e32 v10, vcc_lo, 0, v14, vcc_lo
	s_delay_alu instid0(VALU_DEP_2) | instskip(NEXT) | instid1(VALU_DEP_2)
	v_add_co_u32 v8, vcc_lo, v9, v8
	v_add_co_ci_u32_e32 v9, vcc_lo, 0, v10, vcc_lo
	s_delay_alu instid0(VALU_DEP_2) | instskip(NEXT) | instid1(VALU_DEP_2)
	v_add_co_u32 v2, vcc_lo, v2, v8
	v_add_co_ci_u32_e32 v7, vcc_lo, v7, v9, vcc_lo
	s_delay_alu instid0(VALU_DEP_2) | instskip(SKIP_1) | instid1(VALU_DEP_3)
	v_mul_hi_u32 v8, s2, v2
	v_mul_lo_u32 v10, s22, v2
	v_mul_lo_u32 v9, s2, v7
	s_delay_alu instid0(VALU_DEP_1) | instskip(SKIP_1) | instid1(VALU_DEP_2)
	v_add_nc_u32_e32 v8, v8, v9
	v_mul_lo_u32 v9, s2, v2
	v_add_nc_u32_e32 v8, v8, v10
	s_delay_alu instid0(VALU_DEP_2) | instskip(NEXT) | instid1(VALU_DEP_2)
	v_mul_hi_u32 v10, v2, v9
	v_mul_lo_u32 v11, v2, v8
	v_mul_hi_u32 v12, v2, v8
	v_mul_hi_u32 v13, v7, v9
	v_mul_lo_u32 v9, v7, v9
	v_mul_hi_u32 v14, v7, v8
	v_mul_lo_u32 v8, v7, v8
	v_add_co_u32 v10, vcc_lo, v10, v11
	v_add_co_ci_u32_e32 v11, vcc_lo, 0, v12, vcc_lo
	s_delay_alu instid0(VALU_DEP_2) | instskip(NEXT) | instid1(VALU_DEP_2)
	v_add_co_u32 v9, vcc_lo, v10, v9
	v_add_co_ci_u32_e32 v9, vcc_lo, v11, v13, vcc_lo
	v_add_co_ci_u32_e32 v10, vcc_lo, 0, v14, vcc_lo
	s_delay_alu instid0(VALU_DEP_2) | instskip(NEXT) | instid1(VALU_DEP_2)
	v_add_co_u32 v8, vcc_lo, v9, v8
	v_add_co_ci_u32_e32 v9, vcc_lo, 0, v10, vcc_lo
	s_delay_alu instid0(VALU_DEP_2) | instskip(NEXT) | instid1(VALU_DEP_2)
	v_add_co_u32 v2, vcc_lo, v2, v8
	v_add_co_ci_u32_e32 v13, vcc_lo, v7, v9, vcc_lo
	s_delay_alu instid0(VALU_DEP_2) | instskip(SKIP_1) | instid1(VALU_DEP_3)
	v_mul_hi_u32 v14, v5, v2
	v_mad_u64_u32 v[9:10], null, v6, v2, 0
	v_mad_u64_u32 v[7:8], null, v5, v13, 0
	;; [unrolled: 1-line block ×3, first 2 shown]
	s_delay_alu instid0(VALU_DEP_2) | instskip(NEXT) | instid1(VALU_DEP_3)
	v_add_co_u32 v2, vcc_lo, v14, v7
	v_add_co_ci_u32_e32 v7, vcc_lo, 0, v8, vcc_lo
	s_delay_alu instid0(VALU_DEP_2) | instskip(NEXT) | instid1(VALU_DEP_2)
	v_add_co_u32 v2, vcc_lo, v2, v9
	v_add_co_ci_u32_e32 v2, vcc_lo, v7, v10, vcc_lo
	v_add_co_ci_u32_e32 v7, vcc_lo, 0, v12, vcc_lo
	s_delay_alu instid0(VALU_DEP_2) | instskip(NEXT) | instid1(VALU_DEP_2)
	v_add_co_u32 v2, vcc_lo, v2, v11
	v_add_co_ci_u32_e32 v9, vcc_lo, 0, v7, vcc_lo
	s_delay_alu instid0(VALU_DEP_2) | instskip(SKIP_1) | instid1(VALU_DEP_3)
	v_mul_lo_u32 v10, s21, v2
	v_mad_u64_u32 v[7:8], null, s20, v2, 0
	v_mul_lo_u32 v11, s20, v9
	s_delay_alu instid0(VALU_DEP_2) | instskip(NEXT) | instid1(VALU_DEP_2)
	v_sub_co_u32 v7, vcc_lo, v5, v7
	v_add3_u32 v8, v8, v11, v10
	s_delay_alu instid0(VALU_DEP_1) | instskip(NEXT) | instid1(VALU_DEP_1)
	v_sub_nc_u32_e32 v10, v6, v8
	v_subrev_co_ci_u32_e64 v10, s2, s21, v10, vcc_lo
	v_add_co_u32 v11, s2, v2, 2
	s_delay_alu instid0(VALU_DEP_1) | instskip(SKIP_3) | instid1(VALU_DEP_3)
	v_add_co_ci_u32_e64 v12, s2, 0, v9, s2
	v_sub_co_u32 v13, s2, v7, s20
	v_sub_co_ci_u32_e32 v8, vcc_lo, v6, v8, vcc_lo
	v_subrev_co_ci_u32_e64 v10, s2, 0, v10, s2
	v_cmp_le_u32_e32 vcc_lo, s20, v13
	s_delay_alu instid0(VALU_DEP_3) | instskip(SKIP_1) | instid1(VALU_DEP_4)
	v_cmp_eq_u32_e64 s2, s21, v8
	v_cndmask_b32_e64 v13, 0, -1, vcc_lo
	v_cmp_le_u32_e32 vcc_lo, s21, v10
	v_cndmask_b32_e64 v14, 0, -1, vcc_lo
	v_cmp_le_u32_e32 vcc_lo, s20, v7
	;; [unrolled: 2-line block ×3, first 2 shown]
	v_cndmask_b32_e64 v15, 0, -1, vcc_lo
	v_cmp_eq_u32_e32 vcc_lo, s21, v10
	s_delay_alu instid0(VALU_DEP_2) | instskip(SKIP_3) | instid1(VALU_DEP_3)
	v_cndmask_b32_e64 v7, v15, v7, s2
	v_cndmask_b32_e32 v10, v14, v13, vcc_lo
	v_add_co_u32 v13, vcc_lo, v2, 1
	v_add_co_ci_u32_e32 v14, vcc_lo, 0, v9, vcc_lo
	v_cmp_ne_u32_e32 vcc_lo, 0, v10
	s_delay_alu instid0(VALU_DEP_2) | instskip(NEXT) | instid1(VALU_DEP_4)
	v_cndmask_b32_e32 v8, v14, v12, vcc_lo
	v_cndmask_b32_e32 v10, v13, v11, vcc_lo
	v_cmp_ne_u32_e32 vcc_lo, 0, v7
	s_delay_alu instid0(VALU_DEP_2)
	v_dual_cndmask_b32 v7, v2, v10 :: v_dual_cndmask_b32 v8, v9, v8
.LBB0_4:                                ;   in Loop: Header=BB0_2 Depth=1
	s_and_not1_saveexec_b32 s2, s3
	s_cbranch_execz .LBB0_6
; %bb.5:                                ;   in Loop: Header=BB0_2 Depth=1
	v_cvt_f32_u32_e32 v2, s20
	s_sub_i32 s3, 0, s20
	s_delay_alu instid0(VALU_DEP_1) | instskip(SKIP_2) | instid1(VALU_DEP_1)
	v_rcp_iflag_f32_e32 v2, v2
	s_waitcnt_depctr 0xfff
	v_mul_f32_e32 v2, 0x4f7ffffe, v2
	v_cvt_u32_f32_e32 v2, v2
	s_delay_alu instid0(VALU_DEP_1) | instskip(NEXT) | instid1(VALU_DEP_1)
	v_mul_lo_u32 v7, s3, v2
	v_mul_hi_u32 v7, v2, v7
	s_delay_alu instid0(VALU_DEP_1) | instskip(NEXT) | instid1(VALU_DEP_1)
	v_add_nc_u32_e32 v2, v2, v7
	v_mul_hi_u32 v2, v5, v2
	s_delay_alu instid0(VALU_DEP_1) | instskip(SKIP_1) | instid1(VALU_DEP_2)
	v_mul_lo_u32 v7, v2, s20
	v_add_nc_u32_e32 v8, 1, v2
	v_sub_nc_u32_e32 v7, v5, v7
	s_delay_alu instid0(VALU_DEP_1) | instskip(SKIP_1) | instid1(VALU_DEP_2)
	v_subrev_nc_u32_e32 v9, s20, v7
	v_cmp_le_u32_e32 vcc_lo, s20, v7
	v_dual_cndmask_b32 v7, v7, v9 :: v_dual_cndmask_b32 v2, v2, v8
	s_delay_alu instid0(VALU_DEP_1) | instskip(NEXT) | instid1(VALU_DEP_2)
	v_cmp_le_u32_e32 vcc_lo, s20, v7
	v_add_nc_u32_e32 v8, 1, v2
	s_delay_alu instid0(VALU_DEP_1)
	v_dual_cndmask_b32 v7, v2, v8 :: v_dual_mov_b32 v8, v1
.LBB0_6:                                ;   in Loop: Header=BB0_2 Depth=1
	s_or_b32 exec_lo, exec_lo, s2
	s_load_b64 s[2:3], s[14:15], 0x0
	s_delay_alu instid0(VALU_DEP_1) | instskip(NEXT) | instid1(VALU_DEP_2)
	v_mul_lo_u32 v2, v8, s20
	v_mul_lo_u32 v11, v7, s21
	v_mad_u64_u32 v[9:10], null, v7, s20, 0
	s_add_u32 s18, s18, 1
	s_addc_u32 s19, s19, 0
	s_add_u32 s14, s14, 8
	s_addc_u32 s15, s15, 0
	;; [unrolled: 2-line block ×3, first 2 shown]
	s_delay_alu instid0(VALU_DEP_1) | instskip(SKIP_1) | instid1(VALU_DEP_2)
	v_add3_u32 v2, v10, v11, v2
	v_sub_co_u32 v9, vcc_lo, v5, v9
	v_sub_co_ci_u32_e32 v2, vcc_lo, v6, v2, vcc_lo
	s_waitcnt lgkmcnt(0)
	s_delay_alu instid0(VALU_DEP_2) | instskip(NEXT) | instid1(VALU_DEP_2)
	v_mul_lo_u32 v10, s3, v9
	v_mul_lo_u32 v2, s2, v2
	v_mad_u64_u32 v[5:6], null, s2, v9, v[3:4]
	v_cmp_ge_u64_e64 s2, s[18:19], s[6:7]
	s_delay_alu instid0(VALU_DEP_1) | instskip(NEXT) | instid1(VALU_DEP_2)
	s_and_b32 vcc_lo, exec_lo, s2
	v_add3_u32 v4, v10, v6, v2
	s_delay_alu instid0(VALU_DEP_3)
	v_mov_b32_e32 v3, v5
	s_cbranch_vccnz .LBB0_9
; %bb.7:                                ;   in Loop: Header=BB0_2 Depth=1
	v_dual_mov_b32 v5, v7 :: v_dual_mov_b32 v6, v8
	s_branch .LBB0_2
.LBB0_8:
	v_dual_mov_b32 v8, v6 :: v_dual_mov_b32 v7, v5
.LBB0_9:
	s_lshl_b64 s[2:3], s[6:7], 3
	v_mul_hi_u32 v5, 0x2302303, v0
	s_add_u32 s2, s12, s2
	s_addc_u32 s3, s13, s3
                                        ; implicit-def: $vgpr34_vgpr35
                                        ; implicit-def: $vgpr30_vgpr31
                                        ; implicit-def: $vgpr22_vgpr23
                                        ; implicit-def: $vgpr14_vgpr15
                                        ; implicit-def: $vgpr18_vgpr19
                                        ; implicit-def: $vgpr10_vgpr11
                                        ; implicit-def: $vgpr26_vgpr27
	s_load_b64 s[2:3], s[2:3], 0x0
	s_load_b64 s[0:1], s[0:1], 0x20
	s_waitcnt lgkmcnt(0)
	v_mul_lo_u32 v6, s2, v8
	v_mul_lo_u32 v9, s3, v7
	v_mad_u64_u32 v[1:2], null, s2, v7, v[3:4]
	v_mul_u32_u24_e32 v3, 0x75, v5
	v_cmp_gt_u64_e32 vcc_lo, s[0:1], v[7:8]
	s_delay_alu instid0(VALU_DEP_2) | instskip(NEXT) | instid1(VALU_DEP_4)
	v_sub_nc_u32_e32 v64, v0, v3
	v_add3_u32 v2, v9, v2, v6
                                        ; implicit-def: $vgpr6_vgpr7
	s_delay_alu instid0(VALU_DEP_2) | instskip(NEXT) | instid1(VALU_DEP_2)
	v_cmp_gt_u32_e64 s0, 0x5b, v64
	v_lshlrev_b64 v[60:61], 4, v[1:2]
                                        ; implicit-def: $vgpr2_vgpr3
	s_delay_alu instid0(VALU_DEP_2) | instskip(NEXT) | instid1(SALU_CYCLE_1)
	s_and_b32 s1, vcc_lo, s0
	s_and_saveexec_b32 s2, s1
	s_cbranch_execz .LBB0_11
; %bb.10:
	v_add_nc_u32_e32 v16, 0x16c, v64
	v_add_nc_u32_e32 v23, 0x1c7, v64
	v_mad_u64_u32 v[0:1], null, s8, v64, 0
	v_add_nc_u32_e32 v11, 0x111, v64
	s_delay_alu instid0(VALU_DEP_4) | instskip(SKIP_1) | instid1(VALU_DEP_1)
	v_mad_u64_u32 v[12:13], null, s8, v16, 0
	v_add_co_u32 v30, s1, s10, v60
	v_add_co_ci_u32_e64 v31, s1, s11, v61, s1
	v_add_nc_u32_e32 v24, 0x222, v64
	v_add_nc_u32_e32 v32, 0x27d, v64
	v_mad_u64_u32 v[14:15], null, s9, v16, v[13:14]
	v_mad_u64_u32 v[15:16], null, s8, v23, 0
	v_add_nc_u32_e32 v9, 0x5b, v64
	v_mad_u64_u32 v[17:18], null, s8, v24, 0
	v_mad_u64_u32 v[19:20], null, s8, v32, 0
	s_delay_alu instid0(VALU_DEP_4) | instskip(NEXT) | instid1(VALU_DEP_4)
	v_dual_mov_b32 v13, v14 :: v_dual_mov_b32 v14, v16
	v_mad_u64_u32 v[2:3], null, s8, v9, 0
	v_add_nc_u32_e32 v10, 0xb6, v64
	s_delay_alu instid0(VALU_DEP_3) | instskip(NEXT) | instid1(VALU_DEP_4)
	v_lshlrev_b64 v[12:13], 4, v[12:13]
	v_mad_u64_u32 v[21:22], null, s9, v23, v[14:15]
	v_dual_mov_b32 v16, v18 :: v_dual_add_nc_u32 v33, 0x2d8, v64
	v_mad_u64_u32 v[6:7], null, s9, v64, v[1:2]
	v_mov_b32_e32 v1, v3
	v_mad_u64_u32 v[4:5], null, s8, v10, 0
	v_mov_b32_e32 v14, v20
	;; [unrolled: 2-line block ×4, first 2 shown]
	v_mov_b32_e32 v1, v6
	v_mad_u64_u32 v[8:9], null, s8, v11, 0
	v_mad_u64_u32 v[28:29], null, s8, v33, 0
	s_delay_alu instid0(VALU_DEP_4) | instskip(SKIP_4) | instid1(VALU_DEP_4)
	v_mad_u64_u32 v[5:6], null, s9, v10, v[3:4]
	v_mov_b32_e32 v3, v7
	v_lshlrev_b64 v[0:1], 4, v[0:1]
	v_mov_b32_e32 v6, v9
	v_mad_u64_u32 v[20:21], null, s9, v32, v[14:15]
	v_lshlrev_b64 v[2:3], 4, v[2:3]
	v_lshlrev_b64 v[15:16], 4, v[15:16]
	s_delay_alu instid0(VALU_DEP_4)
	v_mad_u64_u32 v[9:10], null, s9, v11, v[6:7]
	v_add_co_u32 v0, s1, v30, v0
	v_lshlrev_b64 v[10:11], 4, v[4:5]
	v_add_co_ci_u32_e64 v1, s1, v31, v1, s1
	v_mov_b32_e32 v14, v29
	v_add_co_u32 v6, s1, v30, v2
	v_lshlrev_b64 v[8:9], 4, v[8:9]
	v_mov_b32_e32 v18, v22
	s_delay_alu instid0(VALU_DEP_4) | instskip(SKIP_2) | instid1(VALU_DEP_1)
	v_mad_u64_u32 v[21:22], null, s9, v33, v[14:15]
	v_add_co_ci_u32_e64 v7, s1, v31, v3, s1
	v_add_co_u32 v10, s1, v30, v10
	v_add_co_ci_u32_e64 v11, s1, v31, v11, s1
	s_delay_alu instid0(VALU_DEP_4) | instskip(SKIP_1) | instid1(VALU_DEP_1)
	v_mov_b32_e32 v29, v21
	v_add_co_u32 v8, s1, v30, v8
	v_add_co_ci_u32_e64 v9, s1, v31, v9, s1
	v_add_co_u32 v12, s1, v30, v12
	v_lshlrev_b64 v[17:18], 4, v[17:18]
	v_add_co_ci_u32_e64 v13, s1, v31, v13, s1
	v_add_co_u32 v14, s1, v30, v15
	v_lshlrev_b64 v[19:20], 4, v[19:20]
	;; [unrolled: 3-line block ×3, first 2 shown]
	v_add_co_ci_u32_e64 v22, s1, v31, v18, s1
	v_add_co_u32 v28, s1, v30, v19
	s_delay_alu instid0(VALU_DEP_1) | instskip(NEXT) | instid1(VALU_DEP_4)
	v_add_co_ci_u32_e64 v29, s1, v31, v20, s1
	v_add_co_u32 v32, s1, v30, v16
	s_delay_alu instid0(VALU_DEP_1)
	v_add_co_ci_u32_e64 v33, s1, v31, v17, s1
	s_clause 0x8
	global_load_b128 v[0:3], v[0:1], off
	global_load_b128 v[4:7], v[6:7], off
	;; [unrolled: 1-line block ×9, first 2 shown]
.LBB0_11:
	s_or_b32 exec_lo, exec_lo, s2
	s_waitcnt vmcnt(0)
	v_add_f64 v[38:39], v[4:5], -v[32:33]
	v_add_f64 v[36:37], v[6:7], -v[34:35]
	v_add_f64 v[32:33], v[32:33], v[4:5]
	v_add_f64 v[34:35], v[34:35], v[6:7]
	v_add_f64 v[42:43], v[16:17], -v[12:13]
	v_add_f64 v[40:41], v[18:19], -v[14:15]
	v_add_f64 v[44:45], v[12:13], v[16:17]
	v_add_f64 v[46:47], v[14:15], v[18:19]
	s_mov_b32 s18, 0xa2cf5039
	s_mov_b32 s13, 0x3fe491b7
	;; [unrolled: 1-line block ×4, first 2 shown]
	v_add_f64 v[48:49], v[28:29], v[24:25]
	v_add_f64 v[54:55], v[30:31], v[26:27]
	v_add_f64 v[28:29], v[24:25], -v[28:29]
	v_add_f64 v[30:31], v[26:27], -v[30:31]
	s_mov_b32 s22, 0x8c811c17
	s_mov_b32 s20, 0x7e0b738b
	s_mov_b32 s23, 0x3fef838b
	s_mov_b32 s21, 0x3fc63a1a
	v_add_f64 v[50:51], v[20:21], v[8:9]
	v_add_f64 v[52:53], v[22:23], v[10:11]
	v_add_f64 v[56:57], v[8:9], -v[20:21]
	v_add_f64 v[58:59], v[10:11], -v[22:23]
	s_mov_b32 s2, 0xe8584cab
	s_mov_b32 s3, 0x3febb67a
	;; [unrolled: 1-line block ×8, first 2 shown]
	v_mul_f64 v[4:5], v[38:39], s[12:13]
	v_mul_f64 v[6:7], v[36:37], s[12:13]
	v_fma_f64 v[24:25], v[32:33], s[18:19], v[0:1]
	v_fma_f64 v[26:27], v[34:35], s[18:19], v[2:3]
	v_mul_f64 v[62:63], v[42:43], s[12:13]
	v_mul_f64 v[65:66], v[40:41], s[12:13]
	v_fma_f64 v[67:68], v[44:45], s[18:19], v[0:1]
	v_fma_f64 v[69:70], v[46:47], s[18:19], v[2:3]
	;; [unrolled: 1-line block ×6, first 2 shown]
	v_fma_f64 v[20:21], v[38:39], s[22:23], -v[62:63]
	v_fma_f64 v[22:23], v[36:37], s[22:23], -v[65:66]
	v_fma_f64 v[24:25], v[32:33], s[20:21], v[67:68]
	v_fma_f64 v[26:27], v[34:35], s[20:21], v[69:70]
	;; [unrolled: 1-line block ×4, first 2 shown]
	v_fma_f64 v[8:9], v[50:51], -0.5, v[8:9]
	v_fma_f64 v[10:11], v[52:53], -0.5, v[10:11]
	v_fma_f64 v[20:21], v[56:57], s[6:7], v[20:21]
	v_fma_f64 v[22:23], v[58:59], s[6:7], v[22:23]
	v_fma_f64 v[24:25], v[50:51], -0.5, v[24:25]
	v_fma_f64 v[26:27], v[52:53], -0.5, v[26:27]
	v_fma_f64 v[62:63], v[42:43], s[14:15], v[4:5]
	v_fma_f64 v[4:5], v[40:41], s[14:15], v[6:7]
	;; [unrolled: 1-line block ×8, first 2 shown]
	v_add_f64 v[20:21], v[4:5], v[6:7]
	v_add_f64 v[22:23], v[8:9], -v[62:63]
	s_delay_alu instid0(VALU_DEP_4) | instskip(NEXT) | instid1(VALU_DEP_4)
	v_add_f64 v[24:25], v[65:66], v[24:25]
	v_add_f64 v[26:27], v[26:27], -v[10:11]
	s_delay_alu instid0(VALU_DEP_4) | instskip(NEXT) | instid1(VALU_DEP_4)
	v_fma_f64 v[4:5], v[4:5], -2.0, v[20:21]
	v_fma_f64 v[6:7], v[62:63], 2.0, v[22:23]
	s_delay_alu instid0(VALU_DEP_4) | instskip(NEXT) | instid1(VALU_DEP_4)
	v_fma_f64 v[8:9], v[65:66], -2.0, v[24:25]
	v_fma_f64 v[10:11], v[10:11], 2.0, v[26:27]
	s_and_saveexec_b32 s1, s0
	s_cbranch_execz .LBB0_13
; %bb.12:
	v_mul_f64 v[62:63], v[42:43], s[22:23]
	v_fma_f64 v[65:66], v[54:55], s[18:19], v[2:3]
	v_mul_f64 v[67:68], v[40:41], s[22:23]
	v_fma_f64 v[69:70], v[48:49], s[18:19], v[0:1]
	v_add_f64 v[54:55], v[54:55], v[34:35]
	v_add_f64 v[48:49], v[48:49], v[32:33]
	s_mov_b32 s13, 0xbfe491b7
	v_mul_f64 v[56:57], v[56:57], s[2:3]
	v_mul_f64 v[58:59], v[58:59], s[2:3]
	v_mul_f64 v[71:72], v[50:51], 0.5
	v_mul_f64 v[73:74], v[52:53], 0.5
	v_add_f64 v[75:76], v[52:53], v[2:3]
	v_add_f64 v[77:78], v[50:51], v[0:1]
	;; [unrolled: 1-line block ×4, first 2 shown]
	v_fma_f64 v[62:63], v[28:29], s[12:13], -v[62:63]
	v_fma_f64 v[65:66], v[46:47], s[20:21], v[65:66]
	v_fma_f64 v[67:68], v[30:31], s[12:13], -v[67:68]
	v_fma_f64 v[69:70], v[44:45], s[20:21], v[69:70]
	v_add_f64 v[52:53], v[52:53], v[54:55]
	v_add_f64 v[50:51], v[50:51], v[48:49]
	;; [unrolled: 1-line block ×4, first 2 shown]
	v_add_f64 v[28:29], v[42:43], -v[28:29]
	v_add_f64 v[30:31], v[40:41], -v[30:31]
	v_add_f64 v[48:49], v[56:57], v[62:63]
	v_add_f64 v[54:55], v[65:66], -v[73:74]
	v_add_f64 v[56:57], v[58:59], v[67:68]
	;; [unrolled: 2-line block ×3, first 2 shown]
	v_add_f64 v[16:17], v[16:17], v[50:51]
	v_fma_f64 v[40:41], v[46:47], -0.5, v[75:76]
	v_fma_f64 v[42:43], v[44:45], -0.5, v[77:78]
	v_mul_f64 v[44:45], v[28:29], s[2:3]
	v_mul_f64 v[46:47], v[30:31], s[2:3]
	v_fma_f64 v[38:39], v[38:39], s[14:15], v[48:49]
	v_fma_f64 v[34:35], v[34:35], s[16:17], v[54:55]
	;; [unrolled: 1-line block ×4, first 2 shown]
	v_add_f64 v[48:49], v[14:15], v[18:19]
	v_add_f64 v[50:51], v[12:13], v[16:17]
	v_fma_f64 v[14:15], v[28:29], s[6:7], v[40:41]
	v_fma_f64 v[12:13], v[30:31], s[2:3], v[42:43]
	v_add_f64 v[18:19], v[34:35], -v[38:39]
	v_add_f64 v[16:17], v[36:37], v[32:33]
	v_add_f64 v[2:3], v[2:3], v[48:49]
	;; [unrolled: 1-line block ×3, first 2 shown]
	v_fma_f64 v[30:31], v[44:45], 2.0, v[14:15]
	v_fma_f64 v[28:29], v[46:47], -2.0, v[12:13]
	v_fma_f64 v[34:35], v[38:39], 2.0, v[18:19]
	v_fma_f64 v[32:33], v[36:37], -2.0, v[16:17]
	v_mad_u32_u24 v36, 0x90, v64, 0
	ds_store_b128 v36, v[24:27] offset:32
	ds_store_b128 v36, v[12:15] offset:48
	ds_store_b128 v36, v[0:3]
	ds_store_b128 v36, v[20:23] offset:16
	ds_store_b128 v36, v[28:31] offset:96
	;; [unrolled: 1-line block ×6, first 2 shown]
.LBB0_13:
	s_or_b32 exec_lo, exec_lo, s1
	v_and_b32_e32 v0, 0xff, v64
	s_waitcnt lgkmcnt(0)
	s_barrier
	buffer_gl0_inv
	v_lshl_add_u32 v48, v64, 4, 0
	v_mul_lo_u16 v0, v0, 57
	s_mov_b32 s0, 0x37e14327
	s_mov_b32 s1, 0x3fe948f6
	;; [unrolled: 1-line block ×4, first 2 shown]
	v_lshrrev_b16 v59, 9, v0
	s_mov_b32 s3, 0x3fac98ee
	s_mov_b32 s7, 0xbfe11646
	;; [unrolled: 1-line block ×4, first 2 shown]
	v_mul_lo_u16 v0, v59, 9
	s_mov_b32 s15, 0x3fd5d0dc
	s_mov_b32 s14, 0xb247c609
	s_delay_alu instid0(VALU_DEP_1) | instskip(NEXT) | instid1(VALU_DEP_1)
	v_sub_nc_u16 v0, v64, v0
	v_and_b32_e32 v73, 0xff, v0
	s_delay_alu instid0(VALU_DEP_1) | instskip(NEXT) | instid1(VALU_DEP_1)
	v_mul_u32_u24_e32 v0, 6, v73
	v_lshlrev_b32_e32 v28, 4, v0
	s_clause 0x5
	global_load_b128 v[0:3], v28, s[4:5]
	global_load_b128 v[12:15], v28, s[4:5] offset:16
	global_load_b128 v[16:19], v28, s[4:5] offset:80
	;; [unrolled: 1-line block ×5, first 2 shown]
	ds_load_b128 v[32:35], v48 offset:1872
	ds_load_b128 v[36:39], v48 offset:3744
	;; [unrolled: 1-line block ×6, first 2 shown]
	s_waitcnt vmcnt(5) lgkmcnt(5)
	v_mul_f64 v[57:58], v[34:35], v[2:3]
	v_mul_f64 v[2:3], v[32:33], v[2:3]
	s_waitcnt vmcnt(4) lgkmcnt(4)
	v_mul_f64 v[62:63], v[38:39], v[14:15]
	v_mul_f64 v[14:15], v[36:37], v[14:15]
	s_waitcnt vmcnt(3) lgkmcnt(3)
	v_mul_f64 v[65:66], v[42:43], v[18:19]
	v_mul_f64 v[18:19], v[40:41], v[18:19]
	s_waitcnt vmcnt(2) lgkmcnt(2)
	v_mul_f64 v[67:68], v[46:47], v[22:23]
	v_mul_f64 v[22:23], v[44:45], v[22:23]
	s_waitcnt vmcnt(1) lgkmcnt(1)
	v_mul_f64 v[69:70], v[51:52], v[26:27]
	v_mul_f64 v[26:27], v[49:50], v[26:27]
	s_waitcnt vmcnt(0) lgkmcnt(0)
	v_mul_f64 v[71:72], v[55:56], v[30:31]
	v_mul_f64 v[30:31], v[53:54], v[30:31]
	v_fma_f64 v[32:33], v[32:33], v[0:1], -v[57:58]
	v_fma_f64 v[0:1], v[34:35], v[0:1], v[2:3]
	v_fma_f64 v[2:3], v[36:37], v[12:13], -v[62:63]
	v_fma_f64 v[12:13], v[38:39], v[12:13], v[14:15]
	;; [unrolled: 2-line block ×6, first 2 shown]
	v_add_f64 v[30:31], v[32:33], v[14:15]
	v_add_f64 v[34:35], v[0:1], v[16:17]
	;; [unrolled: 1-line block ×4, first 2 shown]
	v_add_f64 v[18:19], v[2:3], -v[18:19]
	v_add_f64 v[12:13], v[12:13], -v[20:21]
	v_add_f64 v[40:41], v[22:23], v[26:27]
	v_add_f64 v[42:43], v[24:25], v[28:29]
	v_add_f64 v[20:21], v[26:27], -v[22:23]
	v_add_f64 v[22:23], v[28:29], -v[24:25]
	;; [unrolled: 1-line block ×4, first 2 shown]
	v_add_f64 v[0:1], v[36:37], v[30:31]
	v_add_f64 v[2:3], v[38:39], v[34:35]
	v_add_f64 v[24:25], v[30:31], -v[40:41]
	v_add_f64 v[26:27], v[34:35], -v[42:43]
	;; [unrolled: 1-line block ×10, first 2 shown]
	v_add_f64 v[18:19], v[20:21], v[18:19]
	v_add_f64 v[12:13], v[22:23], v[12:13]
	v_add_f64 v[20:21], v[14:15], -v[20:21]
	v_add_f64 v[22:23], v[16:17], -v[22:23]
	v_add_f64 v[40:41], v[40:41], v[0:1]
	v_add_f64 v[42:43], v[42:43], v[2:3]
	ds_load_b128 v[0:3], v48
	s_waitcnt lgkmcnt(0)
	v_mul_f64 v[24:25], v[24:25], s[0:1]
	v_mul_f64 v[26:27], v[26:27], s[0:1]
	s_mov_b32 s0, 0x429ad128
	v_mul_f64 v[36:37], v[28:29], s[2:3]
	v_mul_f64 v[38:39], v[32:33], s[2:3]
	;; [unrolled: 1-line block ×4, first 2 shown]
	s_mov_b32 s1, 0x3febfeb5
	s_mov_b32 s6, 0xaaaaaaaa
	v_mul_f64 v[53:54], v[49:50], s[0:1]
	v_mul_f64 v[55:56], v[51:52], s[0:1]
	s_mov_b32 s7, 0xbff2aaaa
	v_add_f64 v[14:15], v[18:19], v[14:15]
	v_add_f64 v[12:13], v[12:13], v[16:17]
	s_barrier
	buffer_gl0_inv
	v_add_f64 v[0:1], v[0:1], v[40:41]
	v_add_f64 v[2:3], v[2:3], v[42:43]
	v_fma_f64 v[16:17], v[28:29], s[2:3], v[24:25]
	v_fma_f64 v[18:19], v[32:33], s[2:3], v[26:27]
	v_fma_f64 v[28:29], v[30:31], s[12:13], -v[36:37]
	v_fma_f64 v[32:33], v[34:35], s[12:13], -v[38:39]
	s_mov_b32 s13, 0xbfe77f67
	v_fma_f64 v[36:37], v[20:21], s[14:15], v[44:45]
	v_fma_f64 v[38:39], v[22:23], s[14:15], v[46:47]
	s_mov_b32 s15, 0xbfd5d0dc
	v_fma_f64 v[44:45], v[49:50], s[0:1], -v[44:45]
	v_fma_f64 v[46:47], v[51:52], s[0:1], -v[46:47]
	;; [unrolled: 1-line block ×6, first 2 shown]
	s_mov_b32 s0, 0x37c3f68c
	s_mov_b32 s1, 0x3fdc38aa
	v_fma_f64 v[40:41], v[40:41], s[6:7], v[0:1]
	v_fma_f64 v[42:43], v[42:43], s[6:7], v[2:3]
	;; [unrolled: 1-line block ×8, first 2 shown]
	v_cmp_gt_u32_e64 s0, 63, v64
	v_add_f64 v[51:52], v[16:17], v[40:41]
	v_add_f64 v[53:54], v[18:19], v[42:43]
	;; [unrolled: 1-line block ×6, first 2 shown]
                                        ; implicit-def: $vgpr42_vgpr43
	v_add_f64 v[28:29], v[36:37], v[51:52]
	v_add_f64 v[30:31], v[53:54], -v[34:35]
	v_add_f64 v[20:21], v[49:50], v[24:25]
	v_add_f64 v[22:23], v[26:27], -v[46:47]
	v_add_f64 v[12:13], v[16:17], -v[44:45]
	v_add_f64 v[14:15], v[38:39], v[18:19]
	v_add_f64 v[16:17], v[44:45], v[16:17]
	v_add_f64 v[18:19], v[18:19], -v[38:39]
	v_add_f64 v[24:25], v[24:25], -v[49:50]
	v_add_f64 v[26:27], v[46:47], v[26:27]
	v_add_f64 v[32:33], v[51:52], -v[36:37]
	v_add_f64 v[34:35], v[34:35], v[53:54]
	v_and_b32_e32 v36, 0xffff, v59
	v_lshlrev_b32_e32 v37, 4, v73
                                        ; implicit-def: $vgpr50_vgpr51
                                        ; implicit-def: $vgpr46_vgpr47
                                        ; implicit-def: $vgpr38_vgpr39
	s_delay_alu instid0(VALU_DEP_2) | instskip(NEXT) | instid1(VALU_DEP_1)
	v_mul_u32_u24_e32 v36, 0x3f0, v36
	v_add3_u32 v36, 0, v36, v37
	ds_store_b128 v36, v[0:3]
	ds_store_b128 v36, v[28:31] offset:144
	ds_store_b128 v36, v[20:23] offset:288
	;; [unrolled: 1-line block ×6, first 2 shown]
	s_waitcnt lgkmcnt(0)
	s_barrier
	buffer_gl0_inv
	s_and_saveexec_b32 s1, s0
	s_cbranch_execnz .LBB0_16
; %bb.14:
	s_or_b32 exec_lo, exec_lo, s1
	s_and_b32 s0, vcc_lo, s0
	s_delay_alu instid0(SALU_CYCLE_1)
	s_and_saveexec_b32 s1, s0
	s_cbranch_execnz .LBB0_17
.LBB0_15:
	s_endpgm
.LBB0_16:
	ds_load_b128 v[0:3], v48
	ds_load_b128 v[28:31], v48 offset:1008
	ds_load_b128 v[20:23], v48 offset:2016
	;; [unrolled: 1-line block ×12, first 2 shown]
	s_or_b32 exec_lo, exec_lo, s1
	s_and_b32 s0, vcc_lo, s0
	s_delay_alu instid0(SALU_CYCLE_1)
	s_and_saveexec_b32 s1, s0
	s_cbranch_execz .LBB0_15
.LBB0_17:
	v_mul_u32_u24_e32 v52, 12, v64
	s_mov_b32 s0, 0xe00740e9
	s_mov_b32 s1, 0x3fec55a7
	;; [unrolled: 1-line block ×4, first 2 shown]
	v_lshlrev_b32_e32 v65, 4, v52
	s_mov_b32 s24, 0x42a4c3d2
	s_mov_b32 s25, 0xbfea55e2
	;; [unrolled: 1-line block ×4, first 2 shown]
	s_clause 0x1
	global_load_b128 v[56:59], v65, s[4:5] offset:864
	global_load_b128 v[52:55], v65, s[4:5] offset:880
	s_mov_b32 s12, 0x66966769
	s_mov_b32 s13, 0xbfefc445
	;; [unrolled: 1-line block ×18, first 2 shown]
	v_add_nc_u32_e32 v87, 63, v64
	s_mov_b32 s35, 0x3fefc445
	s_mov_b32 s34, s12
	;; [unrolled: 1-line block ×4, first 2 shown]
	v_add_nc_u32_e32 v111, 0x7e, v64
	v_add_nc_u32_e32 v135, 0xbd, v64
	s_mov_b32 s39, 0x3fea55e2
	s_mov_b32 s38, s24
	v_add_nc_u32_e32 v159, 0xfc, v64
	v_add_nc_u32_e32 v183, 0x13b, v64
	s_waitcnt vmcnt(1) lgkmcnt(11)
	v_mul_f64 v[62:63], v[30:31], v[56:57]
	v_mul_f64 v[30:31], v[30:31], v[58:59]
	s_delay_alu instid0(VALU_DEP_2) | instskip(NEXT) | instid1(VALU_DEP_2)
	v_fma_f64 v[62:63], v[28:29], v[58:59], v[62:63]
	v_fma_f64 v[28:29], v[28:29], v[56:57], -v[30:31]
	s_clause 0x1
	global_load_b128 v[56:59], v65, s[4:5] offset:1040
	global_load_b128 v[66:69], v65, s[4:5] offset:1024
	s_waitcnt vmcnt(1) lgkmcnt(0)
	v_mul_f64 v[30:31], v[50:51], v[56:57]
	v_mul_f64 v[50:51], v[50:51], v[58:59]
	s_delay_alu instid0(VALU_DEP_2) | instskip(NEXT) | instid1(VALU_DEP_2)
	v_fma_f64 v[30:31], v[48:49], v[58:59], v[30:31]
	v_fma_f64 v[48:49], v[48:49], v[56:57], -v[50:51]
	v_mul_f64 v[50:51], v[22:23], v[52:53]
	v_mul_f64 v[22:23], v[22:23], v[54:55]
	s_delay_alu instid0(VALU_DEP_2) | instskip(NEXT) | instid1(VALU_DEP_2)
	v_fma_f64 v[50:51], v[20:21], v[54:55], v[50:51]
	v_fma_f64 v[20:21], v[20:21], v[52:53], -v[22:23]
	s_clause 0x1
	global_load_b128 v[52:55], v65, s[4:5] offset:944
	global_load_b128 v[56:59], v65, s[4:5] offset:928
	s_waitcnt vmcnt(2)
	v_mul_f64 v[22:23], v[46:47], v[66:67]
	v_mul_f64 v[46:47], v[46:47], v[68:69]
	s_delay_alu instid0(VALU_DEP_2) | instskip(NEXT) | instid1(VALU_DEP_2)
	v_fma_f64 v[22:23], v[44:45], v[68:69], v[22:23]
	v_fma_f64 v[46:47], v[44:45], v[66:67], -v[46:47]
	s_waitcnt vmcnt(1)
	v_mul_f64 v[44:45], v[34:35], v[52:53]
	v_mul_f64 v[34:35], v[34:35], v[54:55]
	s_delay_alu instid0(VALU_DEP_2) | instskip(NEXT) | instid1(VALU_DEP_2)
	v_fma_f64 v[44:45], v[32:33], v[54:55], v[44:45]
	v_fma_f64 v[32:33], v[32:33], v[52:53], -v[34:35]
	s_clause 0x1
	global_load_b128 v[52:55], v65, s[4:5] offset:960
	global_load_b128 v[66:69], v65, s[4:5] offset:976
	s_waitcnt vmcnt(1)
	v_mul_f64 v[34:35], v[10:11], v[52:53]
	v_mul_f64 v[10:11], v[10:11], v[54:55]
	s_delay_alu instid0(VALU_DEP_2) | instskip(NEXT) | instid1(VALU_DEP_2)
	v_fma_f64 v[34:35], v[8:9], v[54:55], v[34:35]
	v_fma_f64 v[8:9], v[8:9], v[52:53], -v[10:11]
	v_mul_f64 v[10:11], v[26:27], v[56:57]
	v_mul_f64 v[26:27], v[26:27], v[58:59]
	s_delay_alu instid0(VALU_DEP_2) | instskip(NEXT) | instid1(VALU_DEP_2)
	v_fma_f64 v[10:11], v[24:25], v[58:59], v[10:11]
	v_fma_f64 v[24:25], v[24:25], v[56:57], -v[26:27]
	s_clause 0x1
	global_load_b128 v[52:55], v65, s[4:5] offset:912
	global_load_b128 v[56:59], v65, s[4:5] offset:896
	s_waitcnt vmcnt(2)
	v_mul_f64 v[26:27], v[6:7], v[66:67]
	v_mul_f64 v[6:7], v[6:7], v[68:69]
	s_delay_alu instid0(VALU_DEP_2) | instskip(NEXT) | instid1(VALU_DEP_2)
	v_fma_f64 v[26:27], v[4:5], v[68:69], v[26:27]
	v_fma_f64 v[4:5], v[4:5], v[66:67], -v[6:7]
	s_waitcnt vmcnt(1)
	v_mul_f64 v[6:7], v[18:19], v[52:53]
	s_delay_alu instid0(VALU_DEP_1) | instskip(SKIP_1) | instid1(VALU_DEP_1)
	v_fma_f64 v[66:67], v[16:17], v[54:55], v[6:7]
	v_mul_f64 v[6:7], v[18:19], v[54:55]
	v_fma_f64 v[68:69], v[16:17], v[52:53], -v[6:7]
	s_clause 0x1
	global_load_b128 v[16:19], v65, s[4:5] offset:992
	global_load_b128 v[52:55], v65, s[4:5] offset:1008
	s_mov_b32 s4, 0x1ea71119
	s_mov_b32 s5, 0x3fe22d96
	s_waitcnt vmcnt(1)
	v_mul_f64 v[6:7], v[42:43], v[16:17]
	s_delay_alu instid0(VALU_DEP_1) | instskip(SKIP_1) | instid1(VALU_DEP_1)
	v_fma_f64 v[70:71], v[40:41], v[18:19], v[6:7]
	v_mul_f64 v[6:7], v[42:43], v[18:19]
	v_fma_f64 v[16:17], v[40:41], v[16:17], -v[6:7]
	v_mul_f64 v[6:7], v[14:15], v[56:57]
	s_delay_alu instid0(VALU_DEP_1) | instskip(SKIP_2) | instid1(VALU_DEP_2)
	v_fma_f64 v[18:19], v[12:13], v[58:59], v[6:7]
	v_mul_f64 v[6:7], v[14:15], v[58:59]
	v_add_f64 v[58:59], v[24:25], -v[4:5]
	v_fma_f64 v[40:41], v[12:13], v[56:57], -v[6:7]
	s_waitcnt vmcnt(0)
	v_mul_f64 v[6:7], v[38:39], v[52:53]
	v_add_f64 v[12:13], v[0:1], v[28:29]
	v_add_f64 v[56:57], v[10:11], v[26:27]
	s_delay_alu instid0(VALU_DEP_3) | instskip(SKIP_1) | instid1(VALU_DEP_4)
	v_fma_f64 v[42:43], v[36:37], v[54:55], v[6:7]
	v_mul_f64 v[6:7], v[38:39], v[54:55]
	v_add_f64 v[12:13], v[20:21], v[12:13]
	v_mad_u64_u32 v[38:39], null, s8, v64, 0
	v_add_f64 v[54:55], v[68:69], v[16:17]
	s_delay_alu instid0(VALU_DEP_4) | instskip(SKIP_2) | instid1(VALU_DEP_2)
	v_fma_f64 v[36:37], v[36:37], v[52:53], -v[6:7]
	v_add_f64 v[6:7], v[2:3], v[62:63]
	v_add_f64 v[12:13], v[40:41], v[12:13]
	;; [unrolled: 1-line block ×3, first 2 shown]
	s_delay_alu instid0(VALU_DEP_2) | instskip(NEXT) | instid1(VALU_DEP_2)
	v_add_f64 v[12:13], v[68:69], v[12:13]
	v_add_f64 v[6:7], v[18:19], v[6:7]
	s_delay_alu instid0(VALU_DEP_2) | instskip(NEXT) | instid1(VALU_DEP_2)
	v_add_f64 v[12:13], v[24:25], v[12:13]
	v_add_f64 v[6:7], v[66:67], v[6:7]
	;; [unrolled: 3-line block ×4, first 2 shown]
	s_delay_alu instid0(VALU_DEP_2) | instskip(SKIP_1) | instid1(VALU_DEP_3)
	v_add_f64 v[12:13], v[4:5], v[12:13]
	v_add_f64 v[4:5], v[24:25], v[4:5]
	;; [unrolled: 1-line block ×3, first 2 shown]
	s_delay_alu instid0(VALU_DEP_3) | instskip(NEXT) | instid1(VALU_DEP_2)
	v_add_f64 v[12:13], v[16:17], v[12:13]
	v_add_f64 v[6:7], v[26:27], v[6:7]
	s_delay_alu instid0(VALU_DEP_2) | instskip(SKIP_1) | instid1(VALU_DEP_3)
	v_add_f64 v[12:13], v[36:37], v[12:13]
	v_add_f64 v[26:27], v[10:11], -v[26:27]
	v_add_f64 v[6:7], v[70:71], v[6:7]
	s_delay_alu instid0(VALU_DEP_3) | instskip(NEXT) | instid1(VALU_DEP_2)
	v_add_f64 v[12:13], v[46:47], v[12:13]
	v_add_f64 v[6:7], v[42:43], v[6:7]
	s_delay_alu instid0(VALU_DEP_2) | instskip(NEXT) | instid1(VALU_DEP_2)
	v_add_f64 v[12:13], v[48:49], v[12:13]
	v_add_f64 v[6:7], v[22:23], v[6:7]
	s_delay_alu instid0(VALU_DEP_1) | instskip(SKIP_1) | instid1(VALU_DEP_1)
	v_add_f64 v[14:15], v[30:31], v[6:7]
	v_mov_b32_e32 v6, v39
	v_mad_u64_u32 v[52:53], null, s9, v64, v[6:7]
	v_add_co_u32 v6, vcc_lo, s10, v60
	v_add_co_ci_u32_e32 v7, vcc_lo, s11, v61, vcc_lo
	s_mov_b32 s10, 0xd0032e0c
	s_mov_b32 s11, 0xbfe7f3cc
	s_delay_alu instid0(VALU_DEP_3)
	v_mov_b32_e32 v39, v52
	v_add_f64 v[52:53], v[68:69], -v[16:17]
	v_add_f64 v[16:17], v[44:45], v[34:35]
	v_add_f64 v[34:35], v[44:45], -v[34:35]
	v_add_f64 v[44:45], v[32:33], -v[8:9]
	v_lshlrev_b64 v[38:39], 4, v[38:39]
	v_add_f64 v[32:33], v[32:33], v[8:9]
	s_delay_alu instid0(VALU_DEP_2) | instskip(NEXT) | instid1(VALU_DEP_3)
	v_add_co_u32 v38, vcc_lo, v6, v38
	v_add_co_ci_u32_e32 v39, vcc_lo, v7, v39, vcc_lo
	global_store_b128 v[38:39], v[12:15], off
	v_add_f64 v[12:13], v[62:63], v[30:31]
	v_add_f64 v[14:15], v[62:63], -v[30:31]
	v_add_f64 v[30:31], v[28:29], -v[48:49]
	v_add_f64 v[38:39], v[50:51], v[22:23]
	v_add_f64 v[28:29], v[28:29], v[48:49]
	v_add_f64 v[48:49], v[20:21], -v[46:47]
	v_add_f64 v[22:23], v[50:51], -v[22:23]
	v_add_f64 v[20:21], v[20:21], v[46:47]
	;; [unrolled: 4-line block ×3, first 2 shown]
	v_add_f64 v[40:41], v[66:67], v[70:71]
	v_add_f64 v[50:51], v[66:67], -v[70:71]
	v_mul_f64 v[81:82], v[16:17], s[16:17]
	v_mul_f64 v[83:84], v[34:35], s[30:31]
	;; [unrolled: 1-line block ×20, first 2 shown]
	v_fma_f64 v[8:9], v[30:31], s[2:3], v[24:25]
	v_fma_f64 v[24:25], v[30:31], s[36:37], v[24:25]
	;; [unrolled: 1-line block ×3, first 2 shown]
	v_fma_f64 v[67:68], v[20:21], s[4:5], -v[65:66]
	v_fma_f64 v[91:92], v[20:21], s[18:19], -v[89:90]
	;; [unrolled: 1-line block ×5, first 2 shown]
	v_add_f64 v[8:9], v[2:3], v[8:9]
	v_add_f64 v[24:25], v[2:3], v[24:25]
	s_delay_alu instid0(VALU_DEP_2) | instskip(SKIP_1) | instid1(VALU_DEP_1)
	v_add_f64 v[8:9], v[10:11], v[8:9]
	v_fma_f64 v[10:11], v[28:29], s[0:1], -v[62:63]
	v_add_f64 v[10:11], v[0:1], v[10:11]
	s_delay_alu instid0(VALU_DEP_1) | instskip(SKIP_1) | instid1(VALU_DEP_1)
	v_add_f64 v[10:11], v[67:68], v[10:11]
	v_mul_f64 v[67:68], v[46:47], s[6:7]
	v_fma_f64 v[69:70], v[42:43], s[12:13], v[67:68]
	s_delay_alu instid0(VALU_DEP_1) | instskip(SKIP_1) | instid1(VALU_DEP_1)
	v_add_f64 v[8:9], v[69:70], v[8:9]
	v_mul_f64 v[69:70], v[18:19], s[12:13]
	v_fma_f64 v[71:72], v[36:37], s[6:7], -v[69:70]
	s_delay_alu instid0(VALU_DEP_1) | instskip(SKIP_1) | instid1(VALU_DEP_1)
	v_add_f64 v[10:11], v[71:72], v[10:11]
	v_mul_f64 v[71:72], v[40:41], s[18:19]
	v_fma_f64 v[73:74], v[52:53], s[28:29], v[71:72]
	s_delay_alu instid0(VALU_DEP_1) | instskip(SKIP_1) | instid1(VALU_DEP_1)
	v_add_f64 v[8:9], v[73:74], v[8:9]
	v_mul_f64 v[73:74], v[50:51], s[28:29]
	v_fma_f64 v[75:76], v[54:55], s[18:19], -v[73:74]
	;; [unrolled: 8-line block ×3, first 2 shown]
	s_delay_alu instid0(VALU_DEP_1) | instskip(SKIP_1) | instid1(VALU_DEP_1)
	v_add_f64 v[79:80], v[79:80], v[10:11]
	v_fma_f64 v[10:11], v[44:45], s[30:31], v[81:82]
	v_add_f64 v[10:11], v[10:11], v[8:9]
	v_fma_f64 v[8:9], v[32:33], s[16:17], -v[83:84]
	s_delay_alu instid0(VALU_DEP_1) | instskip(SKIP_1) | instid1(VALU_DEP_1)
	v_add_f64 v[8:9], v[8:9], v[79:80]
	v_mad_u64_u32 v[79:80], null, s8, v87, 0
	v_mad_u64_u32 v[85:86], null, s9, v87, v[80:81]
	v_mul_f64 v[87:88], v[14:15], s[24:25]
	s_delay_alu instid0(VALU_DEP_2) | instskip(SKIP_1) | instid1(VALU_DEP_2)
	v_mov_b32_e32 v80, v85
	v_mul_f64 v[85:86], v[38:39], s[18:19]
	v_lshlrev_b64 v[79:80], 4, v[79:80]
	s_delay_alu instid0(VALU_DEP_1) | instskip(NEXT) | instid1(VALU_DEP_2)
	v_add_co_u32 v79, vcc_lo, v6, v79
	v_add_co_ci_u32_e32 v80, vcc_lo, v7, v80, vcc_lo
	global_store_b128 v[79:80], v[8:11], off
	v_mul_f64 v[79:80], v[12:13], s[4:5]
	v_fma_f64 v[10:11], v[48:49], s[28:29], v[85:86]
	s_delay_alu instid0(VALU_DEP_2) | instskip(SKIP_1) | instid1(VALU_DEP_2)
	v_fma_f64 v[8:9], v[30:31], s[24:25], v[79:80]
	v_fma_f64 v[79:80], v[30:31], s[38:39], v[79:80]
	v_add_f64 v[8:9], v[2:3], v[8:9]
	s_delay_alu instid0(VALU_DEP_2) | instskip(NEXT) | instid1(VALU_DEP_2)
	v_add_f64 v[79:80], v[2:3], v[79:80]
	v_add_f64 v[8:9], v[10:11], v[8:9]
	v_fma_f64 v[10:11], v[28:29], s[4:5], -v[87:88]
	v_fma_f64 v[87:88], v[28:29], s[4:5], v[87:88]
	s_delay_alu instid0(VALU_DEP_2) | instskip(NEXT) | instid1(VALU_DEP_2)
	v_add_f64 v[10:11], v[0:1], v[10:11]
	v_add_f64 v[87:88], v[0:1], v[87:88]
	s_delay_alu instid0(VALU_DEP_2) | instskip(SKIP_1) | instid1(VALU_DEP_1)
	v_add_f64 v[10:11], v[91:92], v[10:11]
	v_mul_f64 v[91:92], v[46:47], s[16:17]
	v_fma_f64 v[93:94], v[42:43], s[30:31], v[91:92]
	s_delay_alu instid0(VALU_DEP_1) | instskip(SKIP_1) | instid1(VALU_DEP_1)
	v_add_f64 v[8:9], v[93:94], v[8:9]
	v_mul_f64 v[93:94], v[18:19], s[30:31]
	v_fma_f64 v[95:96], v[36:37], s[16:17], -v[93:94]
	s_delay_alu instid0(VALU_DEP_1) | instskip(SKIP_1) | instid1(VALU_DEP_1)
	v_add_f64 v[10:11], v[95:96], v[10:11]
	v_mul_f64 v[95:96], v[40:41], s[10:11]
	v_fma_f64 v[97:98], v[52:53], s[14:15], v[95:96]
	s_delay_alu instid0(VALU_DEP_1) | instskip(SKIP_1) | instid1(VALU_DEP_1)
	v_add_f64 v[8:9], v[97:98], v[8:9]
	v_mul_f64 v[97:98], v[50:51], s[14:15]
	v_fma_f64 v[99:100], v[54:55], s[10:11], -v[97:98]
	s_delay_alu instid0(VALU_DEP_1) | instskip(SKIP_1) | instid1(VALU_DEP_1)
	v_add_f64 v[10:11], v[99:100], v[10:11]
	v_mul_f64 v[99:100], v[56:57], s[6:7]
	v_fma_f64 v[101:102], v[58:59], s[34:35], v[99:100]
	s_delay_alu instid0(VALU_DEP_1) | instskip(SKIP_1) | instid1(VALU_DEP_1)
	v_add_f64 v[8:9], v[101:102], v[8:9]
	v_mul_f64 v[101:102], v[26:27], s[34:35]
	v_fma_f64 v[103:104], v[4:5], s[6:7], -v[101:102]
	s_delay_alu instid0(VALU_DEP_1) | instskip(SKIP_1) | instid1(VALU_DEP_1)
	v_add_f64 v[103:104], v[103:104], v[10:11]
	v_fma_f64 v[10:11], v[44:45], s[36:37], v[105:106]
	v_add_f64 v[10:11], v[10:11], v[8:9]
	v_fma_f64 v[8:9], v[32:33], s[0:1], -v[107:108]
	s_delay_alu instid0(VALU_DEP_1) | instskip(SKIP_1) | instid1(VALU_DEP_1)
	v_add_f64 v[8:9], v[8:9], v[103:104]
	v_mad_u64_u32 v[103:104], null, s8, v111, 0
	v_mad_u64_u32 v[109:110], null, s9, v111, v[104:105]
	v_mul_f64 v[111:112], v[14:15], s[12:13]
	s_delay_alu instid0(VALU_DEP_2) | instskip(SKIP_1) | instid1(VALU_DEP_2)
	v_mov_b32_e32 v104, v109
	v_mul_f64 v[109:110], v[38:39], s[16:17]
	v_lshlrev_b64 v[103:104], 4, v[103:104]
	s_delay_alu instid0(VALU_DEP_1) | instskip(NEXT) | instid1(VALU_DEP_2)
	v_add_co_u32 v103, vcc_lo, v6, v103
	v_add_co_ci_u32_e32 v104, vcc_lo, v7, v104, vcc_lo
	global_store_b128 v[103:104], v[8:11], off
	v_mul_f64 v[103:104], v[12:13], s[6:7]
	v_fma_f64 v[10:11], v[48:49], s[30:31], v[109:110]
	s_delay_alu instid0(VALU_DEP_2) | instskip(SKIP_1) | instid1(VALU_DEP_2)
	v_fma_f64 v[8:9], v[30:31], s[12:13], v[103:104]
	v_fma_f64 v[103:104], v[30:31], s[34:35], v[103:104]
	v_add_f64 v[8:9], v[2:3], v[8:9]
	s_delay_alu instid0(VALU_DEP_2) | instskip(NEXT) | instid1(VALU_DEP_2)
	v_add_f64 v[103:104], v[2:3], v[103:104]
	v_add_f64 v[8:9], v[10:11], v[8:9]
	v_fma_f64 v[10:11], v[28:29], s[6:7], -v[111:112]
	v_fma_f64 v[111:112], v[28:29], s[6:7], v[111:112]
	s_delay_alu instid0(VALU_DEP_2) | instskip(NEXT) | instid1(VALU_DEP_2)
	v_add_f64 v[10:11], v[0:1], v[10:11]
	v_add_f64 v[111:112], v[0:1], v[111:112]
	s_delay_alu instid0(VALU_DEP_2) | instskip(SKIP_1) | instid1(VALU_DEP_1)
	v_add_f64 v[10:11], v[115:116], v[10:11]
	v_mul_f64 v[115:116], v[46:47], s[18:19]
	v_fma_f64 v[117:118], v[42:43], s[22:23], v[115:116]
	s_delay_alu instid0(VALU_DEP_1) | instskip(SKIP_1) | instid1(VALU_DEP_1)
	v_add_f64 v[8:9], v[117:118], v[8:9]
	v_mul_f64 v[117:118], v[18:19], s[22:23]
	v_fma_f64 v[119:120], v[36:37], s[18:19], -v[117:118]
	s_delay_alu instid0(VALU_DEP_1) | instskip(SKIP_1) | instid1(VALU_DEP_1)
	v_add_f64 v[10:11], v[119:120], v[10:11]
	v_mul_f64 v[119:120], v[40:41], s[0:1]
	v_fma_f64 v[121:122], v[52:53], s[36:37], v[119:120]
	s_delay_alu instid0(VALU_DEP_1) | instskip(SKIP_1) | instid1(VALU_DEP_1)
	v_add_f64 v[8:9], v[121:122], v[8:9]
	v_mul_f64 v[121:122], v[50:51], s[36:37]
	v_fma_f64 v[123:124], v[54:55], s[0:1], -v[121:122]
	s_delay_alu instid0(VALU_DEP_1) | instskip(SKIP_1) | instid1(VALU_DEP_1)
	v_add_f64 v[10:11], v[123:124], v[10:11]
	v_mul_f64 v[123:124], v[56:57], s[4:5]
	v_fma_f64 v[125:126], v[58:59], s[24:25], v[123:124]
	s_delay_alu instid0(VALU_DEP_1) | instskip(SKIP_1) | instid1(VALU_DEP_1)
	v_add_f64 v[8:9], v[125:126], v[8:9]
	v_mul_f64 v[125:126], v[26:27], s[24:25]
	v_fma_f64 v[127:128], v[4:5], s[4:5], -v[125:126]
	;; [unrolled: 56-line block ×3, first 2 shown]
	s_delay_alu instid0(VALU_DEP_1) | instskip(SKIP_1) | instid1(VALU_DEP_1)
	v_add_f64 v[151:152], v[151:152], v[10:11]
	v_fma_f64 v[10:11], v[44:45], s[38:39], v[153:154]
	v_add_f64 v[10:11], v[10:11], v[8:9]
	v_fma_f64 v[8:9], v[32:33], s[4:5], -v[155:156]
	s_delay_alu instid0(VALU_DEP_1) | instskip(SKIP_1) | instid1(VALU_DEP_1)
	v_add_f64 v[8:9], v[8:9], v[151:152]
	v_mad_u64_u32 v[151:152], null, s8, v159, 0
	v_mad_u64_u32 v[157:158], null, s9, v159, v[152:153]
	v_mul_f64 v[159:160], v[14:15], s[26:27]
	v_mul_f64 v[14:15], v[14:15], s[30:31]
	s_delay_alu instid0(VALU_DEP_3) | instskip(SKIP_2) | instid1(VALU_DEP_3)
	v_mov_b32_e32 v152, v157
	v_mul_f64 v[157:158], v[38:39], s[6:7]
	v_mul_f64 v[38:39], v[38:39], s[0:1]
	v_lshlrev_b64 v[151:152], 4, v[151:152]
	s_delay_alu instid0(VALU_DEP_1) | instskip(NEXT) | instid1(VALU_DEP_2)
	v_add_co_u32 v151, vcc_lo, v6, v151
	v_add_co_ci_u32_e32 v152, vcc_lo, v7, v152, vcc_lo
	global_store_b128 v[151:152], v[8:11], off
	v_mul_f64 v[151:152], v[12:13], s[10:11]
	v_fma_f64 v[10:11], v[48:49], s[34:35], v[157:158]
	s_delay_alu instid0(VALU_DEP_2) | instskip(NEXT) | instid1(VALU_DEP_1)
	v_fma_f64 v[8:9], v[30:31], s[26:27], v[151:152]
	v_add_f64 v[8:9], v[2:3], v[8:9]
	s_delay_alu instid0(VALU_DEP_1) | instskip(SKIP_1) | instid1(VALU_DEP_1)
	v_add_f64 v[8:9], v[10:11], v[8:9]
	v_fma_f64 v[10:11], v[28:29], s[10:11], -v[159:160]
	v_add_f64 v[10:11], v[0:1], v[10:11]
	s_delay_alu instid0(VALU_DEP_1) | instskip(SKIP_1) | instid1(VALU_DEP_1)
	v_add_f64 v[10:11], v[163:164], v[10:11]
	v_mul_f64 v[163:164], v[46:47], s[4:5]
	v_fma_f64 v[165:166], v[42:43], s[24:25], v[163:164]
	s_delay_alu instid0(VALU_DEP_1) | instskip(SKIP_2) | instid1(VALU_DEP_2)
	v_add_f64 v[8:9], v[165:166], v[8:9]
	v_mul_f64 v[165:166], v[18:19], s[24:25]
	v_mul_f64 v[18:19], v[18:19], s[26:27]
	v_fma_f64 v[167:168], v[36:37], s[4:5], -v[165:166]
	s_delay_alu instid0(VALU_DEP_1) | instskip(SKIP_1) | instid1(VALU_DEP_1)
	v_add_f64 v[10:11], v[167:168], v[10:11]
	v_mul_f64 v[167:168], v[40:41], s[16:17]
	v_fma_f64 v[169:170], v[52:53], s[20:21], v[167:168]
	s_delay_alu instid0(VALU_DEP_1) | instskip(SKIP_1) | instid1(VALU_DEP_1)
	v_add_f64 v[8:9], v[169:170], v[8:9]
	v_mul_f64 v[169:170], v[50:51], s[20:21]
	v_fma_f64 v[171:172], v[54:55], s[16:17], -v[169:170]
	s_delay_alu instid0(VALU_DEP_1) | instskip(SKIP_1) | instid1(VALU_DEP_1)
	v_add_f64 v[10:11], v[171:172], v[10:11]
	v_mul_f64 v[171:172], v[56:57], s[0:1]
	v_fma_f64 v[173:174], v[58:59], s[36:37], v[171:172]
	s_delay_alu instid0(VALU_DEP_1) | instskip(SKIP_2) | instid1(VALU_DEP_2)
	v_add_f64 v[8:9], v[173:174], v[8:9]
	v_mul_f64 v[173:174], v[26:27], s[36:37]
	v_mul_f64 v[26:27], v[26:27], s[28:29]
	v_fma_f64 v[175:176], v[4:5], s[0:1], -v[173:174]
	s_delay_alu instid0(VALU_DEP_1) | instskip(SKIP_1) | instid1(VALU_DEP_1)
	v_add_f64 v[175:176], v[175:176], v[10:11]
	v_fma_f64 v[10:11], v[44:45], s[28:29], v[177:178]
	v_add_f64 v[10:11], v[10:11], v[8:9]
	v_fma_f64 v[8:9], v[32:33], s[18:19], -v[179:180]
	s_delay_alu instid0(VALU_DEP_1) | instskip(SKIP_1) | instid1(VALU_DEP_1)
	v_add_f64 v[8:9], v[8:9], v[175:176]
	v_mad_u64_u32 v[175:176], null, s8, v183, 0
	v_mad_u64_u32 v[181:182], null, s9, v183, v[176:177]
	s_delay_alu instid0(VALU_DEP_1) | instskip(NEXT) | instid1(VALU_DEP_1)
	v_mov_b32_e32 v176, v181
	v_lshlrev_b64 v[175:176], 4, v[175:176]
	s_delay_alu instid0(VALU_DEP_1) | instskip(NEXT) | instid1(VALU_DEP_2)
	v_add_co_u32 v175, vcc_lo, v6, v175
	v_add_co_ci_u32_e32 v176, vcc_lo, v7, v176, vcc_lo
	global_store_b128 v[175:176], v[8:11], off
	v_mul_f64 v[8:9], v[12:13], s[16:17]
	v_fma_f64 v[12:13], v[30:31], s[14:15], v[151:152]
	v_fma_f64 v[151:152], v[28:29], s[10:11], v[159:160]
	s_delay_alu instid0(VALU_DEP_3)
	v_fma_f64 v[10:11], v[30:31], s[20:21], v[8:9]
	v_fma_f64 v[8:9], v[30:31], s[30:31], v[8:9]
	;; [unrolled: 1-line block ×3, first 2 shown]
	v_fma_f64 v[14:15], v[28:29], s[16:17], -v[14:15]
	v_fma_f64 v[28:29], v[28:29], s[0:1], v[62:63]
	v_add_f64 v[62:63], v[0:1], v[151:152]
	v_add_f64 v[12:13], v[2:3], v[12:13]
	;; [unrolled: 1-line block ×7, first 2 shown]
	v_fma_f64 v[0:1], v[48:49], s[2:3], v[38:39]
	v_fma_f64 v[38:39], v[48:49], s[36:37], v[38:39]
	s_delay_alu instid0(VALU_DEP_2) | instskip(SKIP_2) | instid1(VALU_DEP_4)
	v_add_f64 v[0:1], v[0:1], v[10:11]
	v_mul_f64 v[10:11], v[22:23], s[36:37]
	v_mul_f64 v[22:23], v[46:47], s[10:11]
	v_add_f64 v[8:9], v[38:39], v[8:9]
	v_fma_f64 v[38:39], v[20:21], s[18:19], v[89:90]
	s_delay_alu instid0(VALU_DEP_4) | instskip(SKIP_1) | instid1(VALU_DEP_3)
	v_fma_f64 v[2:3], v[20:21], s[0:1], v[10:11]
	v_fma_f64 v[10:11], v[20:21], s[0:1], -v[10:11]
	v_add_f64 v[38:39], v[38:39], v[87:88]
	s_delay_alu instid0(VALU_DEP_3) | instskip(SKIP_1) | instid1(VALU_DEP_4)
	v_add_f64 v[2:3], v[2:3], v[30:31]
	v_fma_f64 v[30:31], v[42:43], s[14:15], v[22:23]
	v_add_f64 v[10:11], v[10:11], v[14:15]
	v_fma_f64 v[14:15], v[42:43], s[26:27], v[22:23]
	v_fma_f64 v[22:23], v[42:43], s[2:3], v[139:140]
	s_delay_alu instid0(VALU_DEP_4) | instskip(SKIP_1) | instid1(VALU_DEP_4)
	v_add_f64 v[0:1], v[30:31], v[0:1]
	v_fma_f64 v[30:31], v[36:37], s[10:11], v[18:19]
	v_add_f64 v[8:9], v[14:15], v[8:9]
	v_fma_f64 v[14:15], v[36:37], s[10:11], -v[18:19]
	v_fma_f64 v[18:19], v[32:33], s[18:19], v[179:180]
	s_delay_alu instid0(VALU_DEP_4) | instskip(SKIP_1) | instid1(VALU_DEP_4)
	v_add_f64 v[2:3], v[30:31], v[2:3]
	v_mul_f64 v[30:31], v[40:41], s[4:5]
	v_add_f64 v[10:11], v[14:15], v[10:11]
	s_delay_alu instid0(VALU_DEP_2) | instskip(SKIP_2) | instid1(VALU_DEP_3)
	v_fma_f64 v[40:41], v[52:53], s[24:25], v[30:31]
	v_fma_f64 v[14:15], v[52:53], s[38:39], v[30:31]
	;; [unrolled: 1-line block ×3, first 2 shown]
	v_add_f64 v[0:1], v[40:41], v[0:1]
	v_mul_f64 v[40:41], v[50:51], s[38:39]
	s_delay_alu instid0(VALU_DEP_4) | instskip(NEXT) | instid1(VALU_DEP_4)
	v_add_f64 v[8:9], v[14:15], v[8:9]
	v_add_f64 v[24:25], v[30:31], v[24:25]
	v_fma_f64 v[30:31], v[52:53], s[26:27], v[95:96]
	s_delay_alu instid0(VALU_DEP_4) | instskip(SKIP_2) | instid1(VALU_DEP_3)
	v_fma_f64 v[46:47], v[54:55], s[4:5], v[40:41]
	v_fma_f64 v[14:15], v[54:55], s[4:5], -v[40:41]
	v_fma_f64 v[40:41], v[42:43], s[28:29], v[115:116]
	v_add_f64 v[2:3], v[46:47], v[2:3]
	v_mul_f64 v[46:47], v[56:57], s[18:19]
	s_delay_alu instid0(VALU_DEP_4) | instskip(NEXT) | instid1(VALU_DEP_2)
	v_add_f64 v[10:11], v[14:15], v[10:11]
	v_fma_f64 v[50:51], v[58:59], s[22:23], v[46:47]
	v_fma_f64 v[14:15], v[58:59], s[28:29], v[46:47]
	;; [unrolled: 1-line block ×3, first 2 shown]
	s_delay_alu instid0(VALU_DEP_3) | instskip(SKIP_1) | instid1(VALU_DEP_4)
	v_add_f64 v[0:1], v[50:51], v[0:1]
	v_fma_f64 v[50:51], v[4:5], s[18:19], v[26:27]
	v_add_f64 v[8:9], v[14:15], v[8:9]
	v_fma_f64 v[14:15], v[4:5], s[18:19], -v[26:27]
	v_fma_f64 v[26:27], v[32:33], s[4:5], v[155:156]
	s_delay_alu instid0(VALU_DEP_4) | instskip(SKIP_1) | instid1(VALU_DEP_4)
	v_add_f64 v[50:51], v[50:51], v[2:3]
	v_fma_f64 v[2:3], v[44:45], s[12:13], v[16:17]
	v_add_f64 v[14:15], v[14:15], v[10:11]
	v_fma_f64 v[10:11], v[44:45], s[34:35], v[16:17]
	v_fma_f64 v[16:17], v[32:33], s[6:7], -v[34:35]
	s_delay_alu instid0(VALU_DEP_4) | instskip(SKIP_1) | instid1(VALU_DEP_4)
	v_add_f64 v[2:3], v[2:3], v[0:1]
	v_fma_f64 v[0:1], v[32:33], s[6:7], v[34:35]
	v_add_f64 v[10:11], v[10:11], v[8:9]
	s_delay_alu instid0(VALU_DEP_4)
	v_add_f64 v[8:9], v[16:17], v[14:15]
	v_fma_f64 v[14:15], v[48:49], s[12:13], v[157:158]
	v_fma_f64 v[16:17], v[42:43], s[38:39], v[163:164]
	;; [unrolled: 1-line block ×4, first 2 shown]
	v_add_f64 v[0:1], v[0:1], v[50:51]
	v_fma_f64 v[50:51], v[36:37], s[16:17], v[93:94]
	v_add_f64 v[12:13], v[14:15], v[12:13]
	v_fma_f64 v[14:15], v[20:21], s[6:7], v[161:162]
	v_add_f64 v[34:35], v[34:35], v[111:112]
	v_add_f64 v[24:25], v[42:43], v[24:25]
	v_fma_f64 v[42:43], v[58:59], s[12:13], v[99:100]
	v_add_f64 v[38:39], v[50:51], v[38:39]
	v_fma_f64 v[50:51], v[58:59], s[14:15], v[75:76]
	v_add_f64 v[12:13], v[16:17], v[12:13]
	v_add_f64 v[14:15], v[14:15], v[62:63]
	v_fma_f64 v[16:17], v[36:37], s[4:5], v[165:166]
	s_delay_alu instid0(VALU_DEP_1) | instskip(SKIP_1) | instid1(VALU_DEP_1)
	v_add_f64 v[14:15], v[16:17], v[14:15]
	v_fma_f64 v[16:17], v[52:53], s[30:31], v[167:168]
	v_add_f64 v[12:13], v[16:17], v[12:13]
	v_fma_f64 v[16:17], v[54:55], s[16:17], v[169:170]
	s_delay_alu instid0(VALU_DEP_1) | instskip(SKIP_1) | instid1(VALU_DEP_1)
	v_add_f64 v[14:15], v[16:17], v[14:15]
	v_fma_f64 v[16:17], v[58:59], s[2:3], v[171:172]
	v_add_f64 v[12:13], v[16:17], v[12:13]
	v_fma_f64 v[16:17], v[4:5], s[0:1], v[173:174]
	s_delay_alu instid0(VALU_DEP_1) | instskip(SKIP_1) | instid1(VALU_DEP_1)
	v_add_f64 v[16:17], v[16:17], v[14:15]
	v_fma_f64 v[14:15], v[44:45], s[22:23], v[177:178]
	v_add_f64 v[14:15], v[14:15], v[12:13]
	s_delay_alu instid0(VALU_DEP_3) | instskip(SKIP_3) | instid1(VALU_DEP_3)
	v_add_f64 v[12:13], v[18:19], v[16:17]
	v_fma_f64 v[16:17], v[48:49], s[26:27], v[133:134]
	v_fma_f64 v[18:19], v[20:21], s[10:11], v[137:138]
	;; [unrolled: 1-line block ×3, first 2 shown]
	v_add_f64 v[16:17], v[16:17], v[127:128]
	s_delay_alu instid0(VALU_DEP_3) | instskip(NEXT) | instid1(VALU_DEP_3)
	v_add_f64 v[18:19], v[18:19], v[135:136]
	v_add_f64 v[20:21], v[20:21], v[28:29]
	v_fma_f64 v[28:29], v[52:53], s[2:3], v[119:120]
	s_delay_alu instid0(VALU_DEP_4) | instskip(SKIP_1) | instid1(VALU_DEP_1)
	v_add_f64 v[16:17], v[22:23], v[16:17]
	v_fma_f64 v[22:23], v[36:37], s[0:1], v[141:142]
	v_add_f64 v[18:19], v[22:23], v[18:19]
	v_fma_f64 v[22:23], v[52:53], s[34:35], v[143:144]
	v_fma_f64 v[52:53], v[52:53], s[22:23], v[71:72]
	s_delay_alu instid0(VALU_DEP_2) | instskip(SKIP_1) | instid1(VALU_DEP_3)
	v_add_f64 v[16:17], v[22:23], v[16:17]
	v_fma_f64 v[22:23], v[54:55], s[6:7], v[145:146]
	v_add_f64 v[24:25], v[52:53], v[24:25]
	s_delay_alu instid0(VALU_DEP_2) | instskip(SKIP_1) | instid1(VALU_DEP_1)
	v_add_f64 v[18:19], v[22:23], v[18:19]
	v_fma_f64 v[22:23], v[58:59], s[30:31], v[147:148]
	v_add_f64 v[16:17], v[22:23], v[16:17]
	v_fma_f64 v[22:23], v[4:5], s[16:17], v[149:150]
	s_delay_alu instid0(VALU_DEP_1) | instskip(SKIP_1) | instid1(VALU_DEP_1)
	v_add_f64 v[22:23], v[22:23], v[18:19]
	v_fma_f64 v[18:19], v[44:45], s[24:25], v[153:154]
	v_add_f64 v[18:19], v[18:19], v[16:17]
	s_delay_alu instid0(VALU_DEP_3) | instskip(SKIP_4) | instid1(VALU_DEP_4)
	v_add_f64 v[16:17], v[26:27], v[22:23]
	v_fma_f64 v[22:23], v[48:49], s[20:21], v[109:110]
	v_fma_f64 v[26:27], v[48:49], s[22:23], v[85:86]
	;; [unrolled: 1-line block ×4, first 2 shown]
	v_add_f64 v[22:23], v[22:23], v[103:104]
	s_delay_alu instid0(VALU_DEP_4) | instskip(NEXT) | instid1(VALU_DEP_4)
	v_add_f64 v[26:27], v[26:27], v[79:80]
	v_add_f64 v[34:35], v[48:49], v[34:35]
	v_fma_f64 v[48:49], v[54:55], s[18:19], v[73:74]
	v_add_f64 v[20:21], v[36:37], v[20:21]
	v_fma_f64 v[36:37], v[58:59], s[38:39], v[123:124]
	v_add_f64 v[22:23], v[40:41], v[22:23]
	v_add_f64 v[26:27], v[46:47], v[26:27]
	v_fma_f64 v[46:47], v[54:55], s[10:11], v[97:98]
	v_fma_f64 v[40:41], v[54:55], s[0:1], v[121:122]
	v_add_f64 v[20:21], v[48:49], v[20:21]
	v_add_nc_u32_e32 v48, 0x1f8, v64
	v_add_f64 v[22:23], v[28:29], v[22:23]
	v_add_f64 v[26:27], v[30:31], v[26:27]
	;; [unrolled: 1-line block ×3, first 2 shown]
	v_fma_f64 v[38:39], v[4:5], s[6:7], v[101:102]
	v_add_f64 v[28:29], v[40:41], v[34:35]
	v_fma_f64 v[34:35], v[4:5], s[4:5], v[125:126]
	v_fma_f64 v[4:5], v[4:5], s[10:11], v[77:78]
	;; [unrolled: 1-line block ×5, first 2 shown]
	v_add_f64 v[22:23], v[36:37], v[22:23]
	v_fma_f64 v[36:37], v[32:33], s[0:1], v[107:108]
	v_add_f64 v[26:27], v[42:43], v[26:27]
	v_add_f64 v[30:31], v[38:39], v[30:31]
	;; [unrolled: 1-line block ×4, first 2 shown]
	v_fma_f64 v[34:35], v[32:33], s[10:11], v[131:132]
	v_fma_f64 v[32:33], v[32:33], s[16:17], v[83:84]
	v_add_f64 v[4:5], v[4:5], v[20:21]
	v_add_f64 v[22:23], v[40:41], v[22:23]
	v_mad_u64_u32 v[40:41], null, s8, v48, 0
	v_add_nc_u32_e32 v43, 0x1b9, v64
	v_add_f64 v[24:25], v[36:37], v[30:31]
	v_add_f64 v[30:31], v[44:45], v[38:39]
	;; [unrolled: 1-line block ×3, first 2 shown]
	v_add_nc_u32_e32 v44, 0x2b5, v64
	v_mad_u64_u32 v[36:37], null, s8, v43, 0
	v_add_nc_u32_e32 v42, 0x17a, v64
	v_add_f64 v[28:29], v[32:33], v[4:5]
	v_add_f64 v[26:27], v[46:47], v[26:27]
	s_delay_alu instid0(VALU_DEP_4) | instskip(NEXT) | instid1(VALU_DEP_4)
	v_dual_mov_b32 v5, v37 :: v_dual_add_nc_u32 v46, 0x2f4, v64
	v_mad_u64_u32 v[34:35], null, s8, v42, 0
	s_delay_alu instid0(VALU_DEP_1) | instskip(NEXT) | instid1(VALU_DEP_1)
	v_mov_b32_e32 v4, v35
	v_mad_u64_u32 v[32:33], null, s9, v42, v[4:5]
	v_mov_b32_e32 v4, v41
	v_mad_u64_u32 v[37:38], null, s9, v43, v[5:6]
	s_delay_alu instid0(VALU_DEP_3) | instskip(NEXT) | instid1(VALU_DEP_3)
	v_mov_b32_e32 v35, v32
	v_mad_u64_u32 v[38:39], null, s9, v48, v[4:5]
	v_add_nc_u32_e32 v39, 0x237, v64
	s_delay_alu instid0(VALU_DEP_4) | instskip(NEXT) | instid1(VALU_DEP_2)
	v_lshlrev_b64 v[36:37], 4, v[36:37]
	v_mad_u64_u32 v[4:5], null, s8, v39, 0
	s_delay_alu instid0(VALU_DEP_4) | instskip(NEXT) | instid1(VALU_DEP_1)
	v_mov_b32_e32 v41, v38
	v_lshlrev_b64 v[40:41], 4, v[40:41]
	s_delay_alu instid0(VALU_DEP_3) | instskip(SKIP_1) | instid1(VALU_DEP_1)
	v_mad_u64_u32 v[32:33], null, s9, v39, v[5:6]
	v_add_nc_u32_e32 v33, 0x276, v64
	v_mad_u64_u32 v[38:39], null, s8, v33, 0
	s_delay_alu instid0(VALU_DEP_3) | instskip(NEXT) | instid1(VALU_DEP_1)
	v_mov_b32_e32 v5, v32
	v_lshlrev_b64 v[4:5], 4, v[4:5]
	s_delay_alu instid0(VALU_DEP_3) | instskip(NEXT) | instid1(VALU_DEP_1)
	v_mov_b32_e32 v32, v39
	v_mad_u64_u32 v[42:43], null, s9, v33, v[32:33]
	v_mad_u64_u32 v[32:33], null, s8, v44, 0
	s_delay_alu instid0(VALU_DEP_2) | instskip(NEXT) | instid1(VALU_DEP_2)
	v_mov_b32_e32 v39, v42
	v_mad_u64_u32 v[42:43], null, s9, v44, v[33:34]
	v_lshlrev_b64 v[34:35], 4, v[34:35]
	s_delay_alu instid0(VALU_DEP_3) | instskip(NEXT) | instid1(VALU_DEP_3)
	v_lshlrev_b64 v[38:39], 4, v[38:39]
	v_mov_b32_e32 v33, v42
	v_mad_u64_u32 v[42:43], null, s8, v46, 0
	s_delay_alu instid0(VALU_DEP_4) | instskip(SKIP_2) | instid1(VALU_DEP_4)
	v_add_co_u32 v34, vcc_lo, v6, v34
	v_add_co_ci_u32_e32 v35, vcc_lo, v7, v35, vcc_lo
	v_add_co_u32 v36, vcc_lo, v6, v36
	v_mad_u64_u32 v[44:45], null, s9, v46, v[43:44]
	v_add_co_ci_u32_e32 v37, vcc_lo, v7, v37, vcc_lo
	v_add_co_u32 v40, vcc_lo, v6, v40
	v_add_co_ci_u32_e32 v41, vcc_lo, v7, v41, vcc_lo
	s_delay_alu instid0(VALU_DEP_4)
	v_mov_b32_e32 v43, v44
	v_add_co_u32 v4, vcc_lo, v6, v4
	v_lshlrev_b64 v[32:33], 4, v[32:33]
	v_add_co_ci_u32_e32 v5, vcc_lo, v7, v5, vcc_lo
	v_add_co_u32 v38, vcc_lo, v6, v38
	v_lshlrev_b64 v[42:43], 4, v[42:43]
	v_add_co_ci_u32_e32 v39, vcc_lo, v7, v39, vcc_lo
	v_add_co_u32 v32, vcc_lo, v6, v32
	v_add_co_ci_u32_e32 v33, vcc_lo, v7, v33, vcc_lo
	s_delay_alu instid0(VALU_DEP_4)
	v_add_co_u32 v6, vcc_lo, v6, v42
	v_add_co_ci_u32_e32 v7, vcc_lo, v7, v43, vcc_lo
	s_clause 0x6
	global_store_b128 v[34:35], v[8:11], off
	global_store_b128 v[36:37], v[0:3], off
	;; [unrolled: 1-line block ×7, first 2 shown]
	s_nop 0
	s_sendmsg sendmsg(MSG_DEALLOC_VGPRS)
	s_endpgm
	.section	.rodata,"a",@progbits
	.p2align	6, 0x0
	.amdhsa_kernel fft_rtc_fwd_len819_factors_9_7_13_wgs_117_tpt_117_dp_ip_CI_sbrr_dirReg
		.amdhsa_group_segment_fixed_size 0
		.amdhsa_private_segment_fixed_size 0
		.amdhsa_kernarg_size 88
		.amdhsa_user_sgpr_count 15
		.amdhsa_user_sgpr_dispatch_ptr 0
		.amdhsa_user_sgpr_queue_ptr 0
		.amdhsa_user_sgpr_kernarg_segment_ptr 1
		.amdhsa_user_sgpr_dispatch_id 0
		.amdhsa_user_sgpr_private_segment_size 0
		.amdhsa_wavefront_size32 1
		.amdhsa_uses_dynamic_stack 0
		.amdhsa_enable_private_segment 0
		.amdhsa_system_sgpr_workgroup_id_x 1
		.amdhsa_system_sgpr_workgroup_id_y 0
		.amdhsa_system_sgpr_workgroup_id_z 0
		.amdhsa_system_sgpr_workgroup_info 0
		.amdhsa_system_vgpr_workitem_id 0
		.amdhsa_next_free_vgpr 184
		.amdhsa_next_free_sgpr 40
		.amdhsa_reserve_vcc 1
		.amdhsa_float_round_mode_32 0
		.amdhsa_float_round_mode_16_64 0
		.amdhsa_float_denorm_mode_32 3
		.amdhsa_float_denorm_mode_16_64 3
		.amdhsa_dx10_clamp 1
		.amdhsa_ieee_mode 1
		.amdhsa_fp16_overflow 0
		.amdhsa_workgroup_processor_mode 1
		.amdhsa_memory_ordered 1
		.amdhsa_forward_progress 0
		.amdhsa_shared_vgpr_count 0
		.amdhsa_exception_fp_ieee_invalid_op 0
		.amdhsa_exception_fp_denorm_src 0
		.amdhsa_exception_fp_ieee_div_zero 0
		.amdhsa_exception_fp_ieee_overflow 0
		.amdhsa_exception_fp_ieee_underflow 0
		.amdhsa_exception_fp_ieee_inexact 0
		.amdhsa_exception_int_div_zero 0
	.end_amdhsa_kernel
	.text
.Lfunc_end0:
	.size	fft_rtc_fwd_len819_factors_9_7_13_wgs_117_tpt_117_dp_ip_CI_sbrr_dirReg, .Lfunc_end0-fft_rtc_fwd_len819_factors_9_7_13_wgs_117_tpt_117_dp_ip_CI_sbrr_dirReg
                                        ; -- End function
	.section	.AMDGPU.csdata,"",@progbits
; Kernel info:
; codeLenInByte = 9880
; NumSgprs: 42
; NumVgprs: 184
; ScratchSize: 0
; MemoryBound: 1
; FloatMode: 240
; IeeeMode: 1
; LDSByteSize: 0 bytes/workgroup (compile time only)
; SGPRBlocks: 5
; VGPRBlocks: 22
; NumSGPRsForWavesPerEU: 42
; NumVGPRsForWavesPerEU: 184
; Occupancy: 8
; WaveLimiterHint : 1
; COMPUTE_PGM_RSRC2:SCRATCH_EN: 0
; COMPUTE_PGM_RSRC2:USER_SGPR: 15
; COMPUTE_PGM_RSRC2:TRAP_HANDLER: 0
; COMPUTE_PGM_RSRC2:TGID_X_EN: 1
; COMPUTE_PGM_RSRC2:TGID_Y_EN: 0
; COMPUTE_PGM_RSRC2:TGID_Z_EN: 0
; COMPUTE_PGM_RSRC2:TIDIG_COMP_CNT: 0
	.text
	.p2alignl 7, 3214868480
	.fill 96, 4, 3214868480
	.type	__hip_cuid_75245d9d679d6ec8,@object ; @__hip_cuid_75245d9d679d6ec8
	.section	.bss,"aw",@nobits
	.globl	__hip_cuid_75245d9d679d6ec8
__hip_cuid_75245d9d679d6ec8:
	.byte	0                               ; 0x0
	.size	__hip_cuid_75245d9d679d6ec8, 1

	.ident	"AMD clang version 19.0.0git (https://github.com/RadeonOpenCompute/llvm-project roc-6.4.0 25133 c7fe45cf4b819c5991fe208aaa96edf142730f1d)"
	.section	".note.GNU-stack","",@progbits
	.addrsig
	.addrsig_sym __hip_cuid_75245d9d679d6ec8
	.amdgpu_metadata
---
amdhsa.kernels:
  - .args:
      - .actual_access:  read_only
        .address_space:  global
        .offset:         0
        .size:           8
        .value_kind:     global_buffer
      - .offset:         8
        .size:           8
        .value_kind:     by_value
      - .actual_access:  read_only
        .address_space:  global
        .offset:         16
        .size:           8
        .value_kind:     global_buffer
      - .actual_access:  read_only
        .address_space:  global
        .offset:         24
        .size:           8
        .value_kind:     global_buffer
      - .offset:         32
        .size:           8
        .value_kind:     by_value
      - .actual_access:  read_only
        .address_space:  global
        .offset:         40
        .size:           8
        .value_kind:     global_buffer
      - .actual_access:  read_only
        .address_space:  global
        .offset:         48
        .size:           8
        .value_kind:     global_buffer
      - .offset:         56
        .size:           4
        .value_kind:     by_value
      - .actual_access:  read_only
        .address_space:  global
        .offset:         64
        .size:           8
        .value_kind:     global_buffer
      - .actual_access:  read_only
        .address_space:  global
        .offset:         72
        .size:           8
        .value_kind:     global_buffer
      - .address_space:  global
        .offset:         80
        .size:           8
        .value_kind:     global_buffer
    .group_segment_fixed_size: 0
    .kernarg_segment_align: 8
    .kernarg_segment_size: 88
    .language:       OpenCL C
    .language_version:
      - 2
      - 0
    .max_flat_workgroup_size: 117
    .name:           fft_rtc_fwd_len819_factors_9_7_13_wgs_117_tpt_117_dp_ip_CI_sbrr_dirReg
    .private_segment_fixed_size: 0
    .sgpr_count:     42
    .sgpr_spill_count: 0
    .symbol:         fft_rtc_fwd_len819_factors_9_7_13_wgs_117_tpt_117_dp_ip_CI_sbrr_dirReg.kd
    .uniform_work_group_size: 1
    .uses_dynamic_stack: false
    .vgpr_count:     184
    .vgpr_spill_count: 0
    .wavefront_size: 32
    .workgroup_processor_mode: 1
amdhsa.target:   amdgcn-amd-amdhsa--gfx1100
amdhsa.version:
  - 1
  - 2
...

	.end_amdgpu_metadata
